;; amdgpu-corpus repo=ROCm/rocFFT kind=compiled arch=gfx950 opt=O3
	.text
	.amdgcn_target "amdgcn-amd-amdhsa--gfx950"
	.amdhsa_code_object_version 6
	.protected	bluestein_single_fwd_len126_dim1_sp_op_CI_CI ; -- Begin function bluestein_single_fwd_len126_dim1_sp_op_CI_CI
	.globl	bluestein_single_fwd_len126_dim1_sp_op_CI_CI
	.p2align	8
	.type	bluestein_single_fwd_len126_dim1_sp_op_CI_CI,@function
bluestein_single_fwd_len126_dim1_sp_op_CI_CI: ; @bluestein_single_fwd_len126_dim1_sp_op_CI_CI
; %bb.0:
	s_load_dwordx4 s[8:11], s[0:1], 0x28
	v_mul_u32_u24_e32 v1, 0x619, v0
	v_lshrrev_b32_e32 v2, 16, v1
	v_mad_u64_u32 v[30:31], s[2:3], s2, 6, v[2:3]
	v_mov_b32_e32 v31, 0
	s_waitcnt lgkmcnt(0)
	v_cmp_gt_u64_e32 vcc, s[8:9], v[30:31]
	s_and_saveexec_b64 s[2:3], vcc
	s_cbranch_execz .LBB0_23
; %bb.1:
	v_mul_lo_u16_e32 v1, 42, v2
	s_mov_b32 s4, 0xaaaaaaab
	v_sub_u16_e32 v31, v0, v1
	v_mul_hi_u32 v0, v30, s4
	s_load_dwordx2 s[2:3], s[0:1], 0x0
	s_load_dwordx2 s[8:9], s[0:1], 0x38
	v_lshrrev_b32_e32 v0, 2, v0
	v_mul_lo_u32 v0, v0, 6
	v_sub_u32_e32 v0, v30, v0
	v_mul_u32_u24_e32 v37, 0x7e, v0
	v_cmp_gt_u16_e32 vcc, 21, v31
	v_lshlrev_b32_e32 v36, 3, v31
	v_lshlrev_b32_e32 v38, 3, v37
	s_and_saveexec_b64 s[12:13], vcc
	s_cbranch_execz .LBB0_3
; %bb.2:
	s_load_dwordx2 s[4:5], s[0:1], 0x18
	v_mov_b32_e32 v0, s10
	v_mov_b32_e32 v1, s11
	;; [unrolled: 1-line block ×3, first 2 shown]
	v_lshl_add_u32 v26, v31, 3, v38
	s_waitcnt lgkmcnt(0)
	s_load_dwordx4 s[4:7], s[4:5], 0x0
	v_add_u32_e32 v27, v38, v36
	s_waitcnt lgkmcnt(0)
	v_mad_u64_u32 v[2:3], s[10:11], s6, v30, 0
	v_mad_u64_u32 v[4:5], s[10:11], s4, v31, 0
	v_mov_b32_e32 v6, v3
	v_mov_b32_e32 v8, v5
	v_mad_u64_u32 v[6:7], s[6:7], s7, v30, v[6:7]
	v_mov_b32_e32 v3, v6
	v_mad_u64_u32 v[6:7], s[6:7], s5, v31, v[8:9]
	v_mov_b32_e32 v5, v6
	v_lshl_add_u64 v[0:1], v[2:3], 3, v[0:1]
	v_lshl_add_u64 v[0:1], v[4:5], 3, v[0:1]
	global_load_dwordx2 v[2:3], v[0:1], off
	v_mad_u64_u32 v[0:1], s[6:7], s4, v22, v[0:1]
	s_mul_i32 s10, s5, 0xa8
	v_add_u32_e32 v1, s10, v1
	v_mad_u64_u32 v[8:9], s[6:7], s4, v22, v[0:1]
	v_add_u32_e32 v9, s10, v9
	global_load_dwordx2 v[4:5], v36, s[2:3]
	global_load_dwordx2 v[6:7], v36, s[2:3] offset:168
	s_nop 0
	global_load_dwordx2 v[0:1], v[0:1], off
	s_nop 0
	global_load_dwordx2 v[10:11], v[8:9], off
	global_load_dwordx2 v[12:13], v36, s[2:3] offset:336
	v_mad_u64_u32 v[8:9], s[6:7], s4, v22, v[8:9]
	v_add_u32_e32 v9, s10, v9
	global_load_dwordx2 v[14:15], v36, s[2:3] offset:504
	global_load_dwordx2 v[16:17], v[8:9], off
	v_mad_u64_u32 v[8:9], s[6:7], s4, v22, v[8:9]
	v_add_u32_e32 v9, s10, v9
	global_load_dwordx2 v[18:19], v[8:9], off
	global_load_dwordx2 v[20:21], v36, s[2:3] offset:672
	v_mad_u64_u32 v[8:9], s[4:5], s4, v22, v[8:9]
	v_add_u32_e32 v9, s10, v9
	global_load_dwordx2 v[22:23], v36, s[2:3] offset:840
	global_load_dwordx2 v[24:25], v[8:9], off
	s_waitcnt vmcnt(10)
	v_mul_f32_e32 v8, v3, v5
	v_mul_f32_e32 v5, v2, v5
	v_fmac_f32_e32 v8, v2, v4
	v_fma_f32 v9, v3, v4, -v5
	s_waitcnt vmcnt(8)
	v_mul_f32_e32 v2, v1, v7
	v_mul_f32_e32 v3, v0, v7
	v_fmac_f32_e32 v2, v0, v6
	v_fma_f32 v3, v1, v6, -v3
	;; [unrolled: 5-line block ×3, first 2 shown]
	ds_write_b64 v26, v[8:9]
	ds_write2_b64 v27, v[2:3], v[0:1] offset0:21 offset1:42
	s_waitcnt vmcnt(4)
	v_mul_f32_e32 v0, v17, v15
	v_mul_f32_e32 v1, v16, v15
	s_waitcnt vmcnt(2)
	v_mul_f32_e32 v2, v19, v21
	v_mul_f32_e32 v3, v18, v21
	v_fmac_f32_e32 v0, v16, v14
	v_fma_f32 v1, v17, v14, -v1
	v_fmac_f32_e32 v2, v18, v20
	v_fma_f32 v3, v19, v20, -v3
	ds_write2_b64 v27, v[0:1], v[2:3] offset0:63 offset1:84
	s_waitcnt vmcnt(0)
	v_mul_f32_e32 v0, v25, v23
	v_mul_f32_e32 v1, v24, v23
	v_fmac_f32_e32 v0, v24, v22
	v_fma_f32 v1, v25, v22, -v1
	ds_write_b64 v27, v[0:1] offset:840
.LBB0_3:
	s_or_b64 exec, exec, s[12:13]
	s_waitcnt lgkmcnt(0)
	s_barrier
	s_waitcnt lgkmcnt(0)
                                        ; implicit-def: $vgpr0
                                        ; implicit-def: $vgpr8
                                        ; implicit-def: $vgpr4
	s_and_saveexec_b64 s[4:5], vcc
	s_cbranch_execz .LBB0_5
; %bb.4:
	v_lshl_add_u32 v8, v37, 3, v36
	ds_read2_b64 v[0:3], v8 offset1:21
	ds_read2_b64 v[4:7], v8 offset0:42 offset1:63
	ds_read2_b64 v[8:11], v8 offset0:84 offset1:105
.LBB0_5:
	s_or_b64 exec, exec, s[4:5]
	s_mov_b32 s4, 0x3f5db3d7
	s_waitcnt lgkmcnt(0)
	v_pk_add_f32 v[14:15], v[8:9], v[4:5]
	v_pk_add_f32 v[18:19], v[6:7], v[10:11]
	v_pk_add_f32 v[20:21], v[6:7], v[10:11] neg_lo:[0,1] neg_hi:[0,1]
	s_mov_b32 s5, 0xbf5db3d7
	v_pk_add_f32 v[16:17], v[4:5], v[8:9] neg_lo:[0,1] neg_hi:[0,1]
	v_pk_add_f32 v[4:5], v[4:5], v[0:1]
	v_pk_add_f32 v[6:7], v[6:7], v[2:3]
	v_pk_fma_f32 v[0:1], v[14:15], 0.5, v[0:1] op_sel_hi:[1,0,1] neg_lo:[1,0,0] neg_hi:[1,0,0]
	v_pk_fma_f32 v[2:3], v[18:19], 0.5, v[2:3] op_sel_hi:[1,0,1] neg_lo:[1,0,0] neg_hi:[1,0,0]
	v_pk_mul_f32 v[14:15], v[20:21], s[4:5] op_sel_hi:[1,0]
	s_load_dwordx2 s[10:11], s[0:1], 0x8
	v_pk_add_f32 v[4:5], v[8:9], v[4:5]
	v_pk_mul_f32 v[8:9], v[16:17], s[4:5] op_sel_hi:[1,0]
	v_pk_add_f32 v[16:17], v[14:15], v[2:3] op_sel:[1,0] op_sel_hi:[0,1]
	v_pk_add_f32 v[2:3], v[2:3], v[14:15] op_sel:[0,1] op_sel_hi:[1,0] neg_lo:[0,1] neg_hi:[0,1]
	v_pk_add_f32 v[6:7], v[10:11], v[6:7]
	v_pk_add_f32 v[10:11], v[8:9], v[0:1] op_sel:[1,0] op_sel_hi:[0,1]
	v_pk_add_f32 v[0:1], v[0:1], v[8:9] op_sel:[0,1] op_sel_hi:[1,0] neg_lo:[0,1] neg_hi:[0,1]
	v_mov_b32_e32 v18, v17
	v_mov_b32_e32 v19, v2
	;; [unrolled: 1-line block ×3, first 2 shown]
	v_mul_f32_e32 v0, 0x3f5db3d7, v3
	v_pk_mul_f32 v[20:21], v[18:19], 0.5 op_sel_hi:[1,0]
	v_mul_f32_e32 v2, 0xbf5db3d7, v16
	v_mov_b32_e32 v9, v11
	v_fmac_f32_e32 v0, 0.5, v16
	v_pk_fma_f32 v[22:23], v[18:19], s[4:5], v[20:21] op_sel:[0,0,1] op_sel_hi:[1,1,0] neg_lo:[0,0,1] neg_hi:[0,0,1]
	v_fmac_f32_e32 v2, 0.5, v3
	v_pk_add_f32 v[12:13], v[6:7], v[4:5]
	v_add_f32_e32 v14, v10, v0
	v_add_f32_e32 v15, v1, v2
	v_pk_add_f32 v[16:17], v[8:9], v[22:23]
	v_sub_f32_e32 v20, v10, v0
	v_pk_add_f32 v[18:19], v[4:5], v[6:7] neg_lo:[0,1] neg_hi:[0,1]
	v_sub_f32_e32 v21, v1, v2
	v_pk_add_f32 v[22:23], v[8:9], v[22:23] neg_lo:[0,1] neg_hi:[0,1]
	v_mul_lo_u16_e32 v34, 6, v31
	s_waitcnt lgkmcnt(0)
	s_barrier
	s_and_saveexec_b64 s[4:5], vcc
	s_cbranch_execz .LBB0_7
; %bb.6:
	v_add_lshl_u32 v0, v37, v34, 3
	ds_write_b128 v0, v[12:15]
	ds_write_b128 v0, v[16:19] offset:16
	ds_write_b128 v0, v[20:23] offset:32
.LBB0_7:
	s_or_b64 exec, exec, s[4:5]
	s_load_dwordx2 s[4:5], s[0:1], 0x20
	v_cmp_gt_u16_e64 s[0:1], 18, v31
	v_add_lshl_u32 v39, v37, v31, 3
	s_waitcnt lgkmcnt(0)
	s_barrier
	s_waitcnt lgkmcnt(0)
                                        ; implicit-def: $vgpr24
	s_and_saveexec_b64 s[6:7], s[0:1]
	s_cbranch_execz .LBB0_9
; %bb.8:
	ds_read2_b64 v[12:15], v39 offset1:18
	ds_read2_b64 v[16:19], v39 offset0:36 offset1:54
	ds_read2_b64 v[20:23], v39 offset0:72 offset1:90
	ds_read_b64 v[24:25], v39 offset:864
.LBB0_9:
	s_or_b64 exec, exec, s[6:7]
	s_movk_i32 s6, 0xab
	v_mul_lo_u16_sdwa v0, v31, s6 dst_sel:DWORD dst_unused:UNUSED_PAD src0_sel:BYTE_0 src1_sel:DWORD
	v_lshrrev_b16_e32 v35, 10, v0
	v_mul_lo_u16_e32 v0, 6, v35
	v_sub_u16_e32 v41, v31, v0
	v_mov_b32_e32 v0, 6
	v_mul_u32_u24_sdwa v0, v41, v0 dst_sel:DWORD dst_unused:UNUSED_PAD src0_sel:BYTE_0 src1_sel:DWORD
	v_lshlrev_b32_e32 v26, 3, v0
	global_load_dwordx4 v[8:11], v26, s[10:11] offset:16
	global_load_dwordx4 v[0:3], v26, s[10:11]
	global_load_dwordx4 v[4:7], v26, s[10:11] offset:32
	s_waitcnt lgkmcnt(2)
	v_mov_b32_e32 v26, v19
	v_mov_b32_e32 v28, v17
	s_waitcnt lgkmcnt(1)
	v_mov_b32_e32 v32, v23
	s_waitcnt lgkmcnt(0)
	v_mov_b32_e32 v40, v25
	s_mov_b32 s20, 0x3eae86e6
	s_mov_b32 s24, 0x3f5ff5aa
	;; [unrolled: 1-line block ×8, first 2 shown]
	s_barrier
	s_waitcnt vmcnt(2)
	v_pk_mul_f32 v[42:43], v[18:19], v[8:9] op_sel:[0,1] op_sel_hi:[1,0]
	s_waitcnt vmcnt(1)
	v_pk_mul_f32 v[46:47], v[16:17], v[2:3]
	s_waitcnt vmcnt(0)
	v_pk_mul_f32 v[48:49], v[22:23], v[4:5]
	v_pk_mul_f32 v[50:51], v[24:25], v[6:7]
	v_mul_f32_e32 v29, v21, v11
	v_mul_f32_e32 v42, v20, v11
	;; [unrolled: 1-line block ×3, first 2 shown]
	v_mov_b32_e32 v46, v3
	v_mov_b32_e32 v48, v5
	;; [unrolled: 1-line block ×3, first 2 shown]
	v_mul_f32_e32 v45, v14, v1
	v_mov_b32_e32 v52, v43
	v_fma_f32 v43, v20, v10, -v29
	v_fmac_f32_e32 v42, v21, v10
	v_fma_f32 v44, v14, v0, -v33
	v_mov_b32_e32 v14, v47
	v_pk_mul_f32 v[20:21], v[16:17], v[46:47]
	v_mov_b32_e32 v46, v49
	v_pk_mul_f32 v[48:49], v[22:23], v[48:49]
	;; [unrolled: 2-line block ×3, first 2 shown]
	v_pk_mul_f32 v[26:27], v[26:27], v[8:9] op_sel:[0,1] op_sel_hi:[1,0]
	v_fmac_f32_e32 v45, v15, v0
	v_pk_fma_f32 v[14:15], v[16:17], v[2:3], v[14:15] neg_lo:[0,0,1] neg_hi:[0,0,1]
	v_pk_fma_f32 v[16:17], v[28:29], v[2:3], v[20:21]
	v_pk_fma_f32 v[20:21], v[22:23], v[4:5], v[46:47] neg_lo:[0,0,1] neg_hi:[0,0,1]
	v_pk_fma_f32 v[22:23], v[32:33], v[4:5], v[48:49]
	;; [unrolled: 2-line block ×3, first 2 shown]
	v_pk_fma_f32 v[26:27], v[18:19], v[8:9], v[26:27] neg_lo:[0,0,1] neg_hi:[0,0,1]
	v_pk_fma_f32 v[18:19], v[18:19], v[8:9], v[52:53] op_sel:[0,1,0] op_sel_hi:[1,0,1]
	v_mov_b32_e32 v25, v28
	v_mov_b32_e32 v15, v16
	;; [unrolled: 1-line block ×4, first 2 shown]
	v_pk_add_f32 v[28:29], v[44:45], v[24:25]
	v_pk_add_f32 v[24:25], v[44:45], v[24:25] neg_lo:[0,1] neg_hi:[0,1]
	v_pk_add_f32 v[44:45], v[14:15], v[20:21]
	v_mov_b32_e32 v17, v42
	v_mov_b32_e32 v32, v43
	;; [unrolled: 1-line block ×3, first 2 shown]
	v_pk_add_f32 v[14:15], v[14:15], v[20:21] neg_lo:[0,1] neg_hi:[0,1]
	v_pk_add_f32 v[18:19], v[42:43], v[18:19] neg_lo:[0,1] neg_hi:[0,1]
	v_mov_b32_e32 v22, v28
	v_mov_b32_e32 v16, v44
	;; [unrolled: 1-line block ×4, first 2 shown]
	v_pk_add_f32 v[42:43], v[18:19], v[14:15] op_sel:[0,1] op_sel_hi:[1,0]
	v_pk_add_f32 v[46:47], v[18:19], v[14:15] op_sel:[0,1] op_sel_hi:[1,0] neg_lo:[0,1] neg_hi:[0,1]
	v_pk_add_f32 v[18:19], v[24:25], v[18:19] op_sel:[1,0] op_sel_hi:[0,1] neg_lo:[0,1] neg_hi:[0,1]
	;; [unrolled: 1-line block ×3, first 2 shown]
	v_pk_add_f32 v[16:17], v[22:23], v[16:17]
	v_pk_add_f32 v[22:23], v[26:27], v[32:33]
	v_pk_mul_f32 v[26:27], v[18:19], s[20:21] op_sel_hi:[1,0]
	v_pk_mul_f32 v[14:15], v[14:15], s[24:25] op_sel_hi:[1,0]
	v_mov_b32_e32 v32, v22
	v_mov_b32_e32 v33, v17
	v_pk_add_f32 v[20:21], v[44:45], v[28:29] neg_lo:[0,1] neg_hi:[0,1]
	v_pk_add_f32 v[24:25], v[42:43], v[24:25] op_sel:[0,1] op_sel_hi:[1,0]
	v_pk_add_f32 v[16:17], v[16:17], v[22:23]
	v_pk_fma_f32 v[22:23], v[46:47], s[22:23], v[14:15] op_sel_hi:[1,0,1] neg_lo:[1,0,0] neg_hi:[1,0,0]
	v_pk_fma_f32 v[14:15], v[18:19], s[20:21], v[14:15] op_sel_hi:[1,0,1] neg_lo:[1,0,1] neg_hi:[1,0,1]
	v_pk_fma_f32 v[18:19], v[46:47], s[22:23], v[26:27] op_sel_hi:[1,0,1]
	v_pk_add_f32 v[26:27], v[28:29], v[32:33] neg_lo:[0,1] neg_hi:[0,1]
	v_pk_add_f32 v[28:29], v[32:33], v[44:45] neg_lo:[0,1] neg_hi:[0,1]
	v_pk_add_f32 v[12:13], v[12:13], v[16:17]
	v_pk_fma_f32 v[32:33], v[24:25], s[18:19], v[18:19] op_sel_hi:[1,0,1]
	v_pk_mul_f32 v[18:19], v[26:27], s[12:13] op_sel_hi:[1,0]
	v_pk_mul_f32 v[26:27], v[28:29], s[14:15] op_sel_hi:[1,0]
	v_pk_fma_f32 v[16:17], v[16:17], s[6:7], v[12:13] op_sel_hi:[1,0,1]
	v_pk_fma_f32 v[26:27], v[20:21], s[16:17], v[26:27] op_sel_hi:[1,0,1] neg_lo:[0,0,1] neg_hi:[0,0,1]
	v_pk_fma_f32 v[20:21], v[20:21], s[16:17], v[18:19] op_sel_hi:[1,0,1] neg_lo:[1,0,1] neg_hi:[1,0,1]
	v_pk_fma_f32 v[18:19], v[28:29], s[14:15], v[18:19] op_sel_hi:[1,0,1]
	v_pk_add_f32 v[26:27], v[26:27], v[16:17]
	v_pk_add_f32 v[28:29], v[20:21], v[16:17]
	;; [unrolled: 1-line block ×3, first 2 shown]
	v_pk_fma_f32 v[16:17], v[24:25], s[18:19], v[22:23] op_sel_hi:[1,0,1]
	v_pk_fma_f32 v[22:23], v[24:25], s[18:19], v[14:15] op_sel_hi:[1,0,1]
	v_pk_add_f32 v[14:15], v[26:27], v[16:17] neg_lo:[0,1] neg_hi:[0,1]
	v_pk_add_f32 v[20:21], v[26:27], v[16:17]
	v_mov_b32_e32 v18, v14
	v_mov_b32_e32 v19, v21
	;; [unrolled: 1-line block ×3, first 2 shown]
	v_pk_add_f32 v[14:15], v[28:29], v[22:23] neg_lo:[0,1] neg_hi:[0,1]
	v_pk_add_f32 v[16:17], v[28:29], v[22:23]
	v_pk_add_f32 v[24:25], v[42:43], v[32:33]
	v_pk_add_f32 v[26:27], v[42:43], v[32:33] neg_lo:[0,1] neg_hi:[0,1]
	v_mov_b32_e32 v22, v14
	v_mov_b32_e32 v23, v17
	;; [unrolled: 1-line block ×4, first 2 shown]
	v_mul_u32_u24_e32 v42, 42, v35
	s_and_saveexec_b64 s[6:7], s[0:1]
	s_cbranch_execz .LBB0_11
; %bb.10:
	v_add_u32_sdwa v14, v42, v41 dst_sel:DWORD dst_unused:UNUSED_PAD src0_sel:DWORD src1_sel:BYTE_0
	v_add_lshl_u32 v14, v37, v14, 3
	v_mov_b32_e32 v25, v27
	v_mov_b32_e32 v17, v15
	ds_write2_b64 v14, v[12:13], v[24:25] offset1:6
	ds_write2_b64 v14, v[16:17], v[18:19] offset0:12 offset1:18
	ds_write2_b64 v14, v[20:21], v[22:23] offset0:24 offset1:30
	ds_write_b64 v14, v[32:33] offset:288
.LBB0_11:
	s_or_b64 exec, exec, s[6:7]
	v_lshlrev_b32_e32 v12, 4, v31
	s_load_dwordx4 s[4:7], s[4:5], 0x0
	s_waitcnt lgkmcnt(0)
	s_barrier
	global_load_dwordx4 v[12:15], v12, s[10:11] offset:288
	ds_read2_b64 v[26:29], v39 offset1:42
	ds_read_b64 v[16:17], v39 offset:672
	s_mov_b32 s10, 0x3f5db3d7
	v_lshl_add_u32 v40, v31, 3, v38
	s_waitcnt vmcnt(0) lgkmcnt(1)
	v_pk_mul_f32 v[24:25], v[28:29], v[12:13] op_sel:[0,1]
	v_mov_b32_e32 v44, v15
	v_pk_fma_f32 v[46:47], v[28:29], v[12:13], v[24:25] op_sel:[1,0,0] op_sel_hi:[0,1,1]
	v_pk_fma_f32 v[24:25], v[28:29], v[12:13], v[24:25] op_sel:[1,0,0] op_sel_hi:[0,0,1] neg_lo:[0,0,1] neg_hi:[0,0,1]
	s_waitcnt lgkmcnt(0)
	v_pk_mul_f32 v[28:29], v[16:17], v[44:45] op_sel_hi:[1,0]
	v_mov_b32_e32 v47, v25
	v_pk_fma_f32 v[44:45], v[16:17], v[14:15], v[28:29] op_sel:[1,0,0] op_sel_hi:[0,1,1]
	v_pk_fma_f32 v[16:17], v[16:17], v[14:15], v[28:29] op_sel:[1,0,0] op_sel_hi:[0,0,1] neg_lo:[0,0,1] neg_hi:[0,0,1]
	v_mov_b32_e32 v28, v25
	v_mov_b32_e32 v29, v46
	;; [unrolled: 1-line block ×3, first 2 shown]
	v_pk_add_f32 v[24:25], v[26:27], v[28:29]
	v_mov_b32_e32 v16, v17
	v_mov_b32_e32 v17, v44
	v_pk_add_f32 v[24:25], v[24:25], v[16:17]
	v_pk_add_f32 v[16:17], v[28:29], v[16:17]
	v_pk_add_f32 v[28:29], v[46:47], v[44:45] neg_lo:[0,1] neg_hi:[0,1]
	v_pk_fma_f32 v[16:17], -0.5, v[16:17], v[26:27] op_sel_hi:[0,1,1]
	v_pk_fma_f32 v[44:45], v[28:29], s[10:11], v[16:17] op_sel_hi:[1,0,1]
	v_pk_fma_f32 v[16:17], v[28:29], s[10:11], v[16:17] op_sel_hi:[1,0,1] neg_lo:[1,0,0] neg_hi:[1,0,0]
	v_mov_b32_e32 v26, v44
	v_mov_b32_e32 v27, v17
	;; [unrolled: 1-line block ×3, first 2 shown]
	ds_write2_b64 v40, v[24:25], v[26:27] offset1:42
	ds_write_b64 v40, v[16:17] offset:672
	s_waitcnt lgkmcnt(0)
	s_barrier
	s_and_saveexec_b64 s[10:11], vcc
	s_cbranch_execz .LBB0_13
; %bb.12:
	global_load_dwordx2 v[28:29], v36, s[2:3] offset:1008
	s_add_u32 s12, s2, 0x3f0
	s_addc_u32 s13, s3, 0
	global_load_dwordx2 v[56:57], v36, s[12:13] offset:168
	global_load_dwordx2 v[58:59], v36, s[12:13] offset:336
	;; [unrolled: 1-line block ×5, first 2 shown]
	ds_read2_b64 v[44:47], v40 offset1:21
	ds_read2_b64 v[48:51], v40 offset0:42 offset1:63
	ds_read2_b64 v[52:55], v40 offset0:84 offset1:105
	s_waitcnt vmcnt(5) lgkmcnt(2)
	v_mul_f32_e32 v35, v45, v29
	v_mul_f32_e32 v67, v44, v29
	v_fma_f32 v66, v44, v28, -v35
	v_fmac_f32_e32 v67, v45, v28
	s_waitcnt vmcnt(4)
	v_mul_f32_e32 v28, v47, v57
	v_mul_f32_e32 v29, v46, v57
	s_waitcnt vmcnt(3) lgkmcnt(1)
	v_mul_f32_e32 v35, v49, v59
	v_mul_f32_e32 v45, v48, v59
	s_waitcnt vmcnt(2)
	v_mul_f32_e32 v43, v51, v61
	v_mul_f32_e32 v57, v50, v61
	s_waitcnt vmcnt(1) lgkmcnt(0)
	v_mul_f32_e32 v68, v53, v63
	v_mul_f32_e32 v59, v52, v63
	s_waitcnt vmcnt(0)
	v_mul_f32_e32 v63, v55, v65
	v_mul_f32_e32 v61, v54, v65
	v_fma_f32 v28, v46, v56, -v28
	v_fmac_f32_e32 v29, v47, v56
	v_fma_f32 v44, v48, v58, -v35
	v_fmac_f32_e32 v45, v49, v58
	;; [unrolled: 2-line block ×5, first 2 shown]
	ds_write2_b64 v40, v[66:67], v[28:29] offset1:21
	ds_write2_b64 v40, v[44:45], v[56:57] offset0:42 offset1:63
	ds_write2_b64 v40, v[58:59], v[60:61] offset0:84 offset1:105
.LBB0_13:
	s_or_b64 exec, exec, s[10:11]
	s_waitcnt lgkmcnt(0)
	s_barrier
	s_and_saveexec_b64 s[10:11], vcc
	s_cbranch_execz .LBB0_15
; %bb.14:
	ds_read2_b64 v[24:27], v40 offset1:21
	ds_read2_b64 v[16:19], v40 offset0:42 offset1:63
	ds_read2_b64 v[20:23], v40 offset0:84 offset1:105
.LBB0_15:
	s_or_b64 exec, exec, s[10:11]
	s_waitcnt lgkmcnt(1)
	v_pk_add_f32 v[28:29], v[16:17], v[24:25]
	s_waitcnt lgkmcnt(0)
	v_pk_add_f32 v[46:47], v[18:19], v[22:23]
	s_mov_b32 s12, 0x3f5db3d7
	v_pk_add_f32 v[48:49], v[20:21], v[16:17]
	v_pk_add_f32 v[16:17], v[16:17], v[20:21] neg_lo:[0,1] neg_hi:[0,1]
	v_pk_add_f32 v[44:45], v[18:19], v[26:27]
	v_pk_add_f32 v[18:19], v[18:19], v[22:23] neg_lo:[0,1] neg_hi:[0,1]
	v_fmac_f32_e32 v27, -0.5, v47
	v_pk_fma_f32 v[24:25], -0.5, v[48:49], v[24:25] op_sel_hi:[0,1,1]
	v_pk_mul_f32 v[16:17], v[16:17], s[12:13] op_sel_hi:[1,0]
	s_mov_b32 s14, 0.5
	v_fmac_f32_e32 v26, -0.5, v46
	v_pk_add_f32 v[44:45], v[22:23], v[44:45]
	v_fmamk_f32 v22, v18, 0x3f5db3d7, v27
	v_fmac_f32_e32 v27, 0xbf5db3d7, v18
	v_pk_add_f32 v[48:49], v[24:25], v[16:17] op_sel:[0,1] op_sel_hi:[1,0]
	v_pk_add_f32 v[16:17], v[24:25], v[16:17] op_sel:[0,1] op_sel_hi:[1,0] neg_lo:[0,1] neg_hi:[0,1]
	s_mov_b32 s13, s14
	v_fmamk_f32 v46, v19, 0xbf5db3d7, v26
	v_pk_add_f32 v[28:29], v[20:21], v[28:29]
	v_mov_b32_e32 v50, v16
	s_mov_b32 s15, s12
	v_pk_mul_f32 v[20:21], v[22:23], s[12:13] op_sel_hi:[0,1]
	v_mov_b32_e32 v16, v27
	s_mov_b32 s10, -0.5
	v_fmac_f32_e32 v26, 0x3f5db3d7, v19
	v_mov_b32_e32 v51, v49
	v_pk_fma_f32 v[22:23], v[46:47], s[14:15], v[20:21] op_sel_hi:[0,1,1]
	v_pk_fma_f32 v[46:47], v[46:47], s[14:15], v[20:21] op_sel_hi:[0,1,1] neg_lo:[0,0,1] neg_hi:[0,0,1]
	v_mov_b32_e32 v49, v17
	s_mov_b32 s11, s12
	v_pk_mul_f32 v[16:17], v[16:17], s[12:13] op_sel_hi:[0,1]
	v_mov_b32_e32 v47, v23
	v_pk_fma_f32 v[16:17], v[26:27], s[10:11], v[16:17] op_sel_hi:[0,1,1] neg_lo:[0,0,1] neg_hi:[0,0,1]
	v_pk_add_f32 v[18:19], v[44:45], v[28:29]
	v_pk_add_f32 v[20:21], v[50:51], v[46:47]
	;; [unrolled: 1-line block ×3, first 2 shown]
	v_pk_add_f32 v[24:25], v[28:29], v[44:45] neg_lo:[0,1] neg_hi:[0,1]
	v_pk_add_f32 v[26:27], v[50:51], v[46:47] neg_lo:[0,1] neg_hi:[0,1]
	;; [unrolled: 1-line block ×3, first 2 shown]
	s_barrier
	s_and_saveexec_b64 s[10:11], vcc
	s_cbranch_execz .LBB0_17
; %bb.16:
	v_lshl_add_u32 v16, v34, 3, v38
	ds_write_b128 v16, v[18:21]
	ds_write_b128 v16, v[22:25] offset:16
	ds_write_b128 v16, v[26:29] offset:32
.LBB0_17:
	s_or_b64 exec, exec, s[10:11]
	s_waitcnt lgkmcnt(0)
	s_barrier
	s_and_saveexec_b64 s[10:11], s[0:1]
	s_cbranch_execz .LBB0_19
; %bb.18:
	ds_read2_b64 v[18:21], v39 offset1:18
	ds_read2_b64 v[22:25], v39 offset0:36 offset1:54
	ds_read2_b64 v[26:29], v39 offset0:72 offset1:90
	ds_read_b64 v[32:33], v39 offset:864
.LBB0_19:
	s_or_b64 exec, exec, s[10:11]
	v_mov_b32_e32 v34, v12
	v_mov_b32_e32 v35, v12
	;; [unrolled: 1-line block ×6, first 2 shown]
	s_waitcnt lgkmcnt(0)
	s_barrier
	s_and_saveexec_b64 s[10:11], s[0:1]
	s_cbranch_execz .LBB0_21
; %bb.20:
	v_mov_b32_e32 v44, v9
	v_mov_b32_e32 v45, v8
	v_pk_mul_f32 v[60:61], v[44:45], v[24:25]
	v_mov_b32_e32 v54, v25
	v_mov_b32_e32 v60, v61
	v_pk_mul_f32 v[8:9], v[8:9], v[24:25]
	v_pk_mul_f32 v[54:55], v[44:45], v[54:55]
	v_pk_fma_f32 v[24:25], v[44:45], v[24:25], v[60:61] neg_lo:[1,0,0] neg_hi:[1,0,0]
	v_pk_mul_f32 v[44:45], v[10:11], v[26:27] op_sel:[1,0] op_sel_hi:[0,1]
	v_pk_mul_f32 v[48:49], v[6:7], v[32:33] op_sel_hi:[1,0]
	v_mov_b32_e32 v32, v33
	v_mov_b32_e32 v52, v27
	;; [unrolled: 1-line block ×3, first 2 shown]
	v_pk_mul_f32 v[46:47], v[0:1], v[20:21] op_sel_hi:[1,0]
	v_pk_mul_f32 v[50:51], v[10:11], v[26:27]
	v_pk_mul_f32 v[52:53], v[10:11], v[52:53] op_sel:[1,0] op_sel_hi:[0,1]
	v_pk_fma_f32 v[10:11], v[10:11], v[26:27], v[44:45] op_sel:[1,0,0] op_sel_hi:[0,1,1] neg_lo:[1,0,0] neg_hi:[1,0,0]
	v_pk_fma_f32 v[26:27], v[6:7], v[32:33], v[48:49] op_sel:[0,0,1] op_sel_hi:[1,0,0] neg_lo:[0,0,1] neg_hi:[0,0,1]
	v_pk_fma_f32 v[6:7], v[6:7], v[32:33], v[48:49] op_sel:[0,0,1] op_sel_hi:[1,0,0]
	v_pk_mul_f32 v[58:59], v[4:5], v[28:29] op_sel_hi:[1,0]
	v_mov_b32_e32 v27, v7
	v_pk_fma_f32 v[6:7], v[0:1], v[20:21], v[46:47] op_sel:[0,1,1] op_sel_hi:[1,1,0] neg_lo:[0,0,1] neg_hi:[0,0,1]
	v_pk_fma_f32 v[0:1], v[0:1], v[20:21], v[46:47] op_sel:[0,1,1] op_sel_hi:[1,1,0]
	v_pk_mul_f32 v[56:57], v[2:3], v[22:23] op_sel_hi:[1,0]
	v_mov_b32_e32 v7, v1
	v_pk_fma_f32 v[0:1], v[4:5], v[28:29], v[58:59] op_sel:[0,1,1] op_sel_hi:[1,1,0] neg_lo:[0,0,1] neg_hi:[0,0,1]
	v_pk_fma_f32 v[4:5], v[4:5], v[28:29], v[58:59] op_sel:[0,1,1] op_sel_hi:[1,1,0]
	v_add_u32_sdwa v9, v42, v41 dst_sel:DWORD dst_unused:UNUSED_PAD src0_sel:DWORD src1_sel:BYTE_0
	v_mov_b32_e32 v1, v5
	v_pk_fma_f32 v[4:5], v[2:3], v[22:23], v[56:57] op_sel:[0,1,1] op_sel_hi:[1,1,0] neg_lo:[0,0,1] neg_hi:[0,0,1]
	v_pk_fma_f32 v[2:3], v[2:3], v[22:23], v[56:57] op_sel:[0,1,1] op_sel_hi:[1,1,0]
	v_lshl_add_u32 v38, v9, 3, v38
	v_mov_b32_e32 v5, v3
	v_mov_b32_e32 v51, v26
	;; [unrolled: 1-line block ×5, first 2 shown]
	v_pk_add_f32 v[2:3], v[26:27], v[6:7]
	v_pk_add_f32 v[20:21], v[0:1], v[4:5]
	v_pk_add_f32 v[22:23], v[6:7], v[26:27] neg_lo:[0,1] neg_hi:[0,1]
	v_pk_add_f32 v[28:29], v[4:5], v[0:1] neg_lo:[0,1] neg_hi:[0,1]
	v_pk_add_f32 v[6:7], v[50:51], v[52:53]
	v_pk_add_f32 v[0:1], v[8:9], v[54:55]
	v_mov_b32_e32 v11, v6
	v_mov_b32_e32 v25, v0
	v_pk_add_f32 v[4:5], v[10:11], v[24:25] neg_lo:[0,1] neg_hi:[0,1]
	s_mov_b32 s0, 0xbeae86e6
	v_mov_b32_e32 v26, v4
	s_mov_b32 s1, 0x3f08b237
	v_pk_add_f32 v[32:33], v[4:5], v[28:29]
	v_mov_b32_e32 v42, v4
	v_mov_b32_e32 v43, v23
	;; [unrolled: 1-line block ×6, first 2 shown]
	v_pk_add_f32 v[4:5], v[42:43], v[4:5] neg_lo:[0,1] neg_hi:[0,1]
	s_mov_b32 s14, s1
	s_mov_b32 s15, s0
	v_mov_b32_e32 v42, v21
	v_mov_b32_e32 v43, v24
	;; [unrolled: 1-line block ×4, first 2 shown]
	v_pk_add_f32 v[8:9], v[8:9], v[26:27] neg_lo:[0,1] neg_hi:[0,1]
	v_pk_mul_f32 v[4:5], v[4:5], s[14:15]
	v_pk_add_f32 v[10:11], v[42:43], v[24:25]
	v_pk_add_f32 v[24:25], v[0:1], v[6:7]
	v_pk_mul_f32 v[26:27], v[8:9], s[0:1]
	v_pk_fma_f32 v[8:9], v[8:9], s[0:1], v[4:5]
	v_pk_add_f32 v[42:43], v[10:11], v[24:25]
	v_mov_b32_e32 v10, v3
	v_mov_b32_e32 v25, v1
	s_mov_b32 s0, 0x3f4a47b2
	v_pk_add_f32 v[44:45], v[10:11], v[24:25] neg_lo:[0,1] neg_hi:[0,1]
	s_mov_b32 s1, 0x3d64c772
	v_mov_b32_e32 v25, v7
	v_mov_b32_e32 v10, v21
	v_pk_add_f32 v[10:11], v[24:25], v[10:11] neg_lo:[0,1] neg_hi:[0,1]
	s_mov_b32 s14, s1
	s_mov_b32 s15, s0
	v_pk_mul_f32 v[10:11], v[10:11], s[14:15]
	v_pk_add_f32 v[18:19], v[18:19], v[42:43]
	v_pk_mul_f32 v[46:47], v[44:45], s[0:1]
	v_pk_fma_f32 v[24:25], v[44:45], s[0:1], v[10:11]
	s_mov_b32 s0, 0xbf955555
	v_pk_add_f32 v[32:33], v[32:33], v[22:23]
	s_mov_b32 s12, 0xbee1c552
	v_pk_fma_f32 v[42:43], v[42:43], s[0:1], v[18:19] op_sel_hi:[1,0,1]
	v_pk_fma_f32 v[8:9], v[32:33], s[12:13], v[8:9] op_sel_hi:[1,0,1]
	v_pk_add_f32 v[24:25], v[24:25], v[42:43]
	v_mov_b32_e32 v0, v21
	v_pk_add_f32 v[44:45], v[24:25], v[8:9]
	v_pk_add_f32 v[8:9], v[24:25], v[8:9] neg_lo:[0,1] neg_hi:[0,1]
	v_mov_b32_e32 v24, v44
	v_mov_b32_e32 v25, v9
	;; [unrolled: 1-line block ×3, first 2 shown]
	ds_write2_b64 v38, v[18:19], v[24:25] offset1:6
	v_pk_add_f32 v[18:19], v[28:29], v[22:23] neg_lo:[0,1] neg_hi:[0,1]
	s_mov_b32 s0, 0xbf5ff5aa
	v_mov_b32_e32 v22, v26
	v_mov_b32_e32 v23, v5
	v_pk_add_f32 v[0:1], v[0:1], v[6:7] neg_lo:[0,1] neg_hi:[0,1]
	s_mov_b32 s14, 0x3f3bfb3b
	v_mov_b32_e32 v2, v46
	v_mov_b32_e32 v3, v11
	;; [unrolled: 1-line block ×4, first 2 shown]
	v_pk_fma_f32 v[22:23], v[18:19], s[0:1], v[22:23] op_sel_hi:[1,0,1] neg_lo:[1,0,1] neg_hi:[1,0,1]
	v_pk_fma_f32 v[2:3], v[0:1], s[14:15], v[2:3] op_sel_hi:[1,0,1] neg_lo:[1,0,1] neg_hi:[1,0,1]
	;; [unrolled: 1-line block ×4, first 2 shown]
	v_pk_fma_f32 v[22:23], v[32:33], s[12:13], v[22:23] op_sel_hi:[1,0,1]
	v_pk_add_f32 v[2:3], v[2:3], v[42:43]
	v_pk_fma_f32 v[4:5], v[32:33], s[12:13], v[4:5] op_sel_hi:[1,0,1]
	v_pk_add_f32 v[0:1], v[0:1], v[42:43]
	v_pk_add_f32 v[6:7], v[2:3], v[22:23]
	v_pk_add_f32 v[2:3], v[2:3], v[22:23] neg_lo:[0,1] neg_hi:[0,1]
	v_pk_add_f32 v[10:11], v[0:1], v[4:5] neg_lo:[0,1] neg_hi:[0,1]
	v_pk_add_f32 v[0:1], v[0:1], v[4:5]
	v_mov_b32_e32 v20, v6
	v_mov_b32_e32 v21, v3
	;; [unrolled: 1-line block ×7, first 2 shown]
	ds_write2_b64 v38, v[20:21], v[4:5] offset0:12 offset1:18
	ds_write2_b64 v38, v[0:1], v[2:3] offset0:24 offset1:30
	ds_write_b64 v38, v[8:9] offset:288
.LBB0_21:
	s_or_b64 exec, exec, s[10:11]
	s_waitcnt lgkmcnt(0)
	s_barrier
	ds_read2_b64 v[0:3], v39 offset1:42
	ds_read_b64 v[4:5], v39 offset:672
	s_mov_b32 s0, 0x3f5db3d7
	s_waitcnt lgkmcnt(1)
	v_pk_mul_f32 v[6:7], v[12:13], v[2:3]
	s_nop 0
	v_pk_fma_f32 v[8:9], v[34:35], v[2:3], v[6:7] op_sel:[0,0,1] op_sel_hi:[1,1,0]
	v_pk_fma_f32 v[2:3], v[34:35], v[2:3], v[6:7] op_sel:[0,0,1] op_sel_hi:[1,1,0] neg_lo:[0,0,1] neg_hi:[0,0,1]
	s_nop 0
	v_mov_b32_e32 v9, v3
	s_waitcnt lgkmcnt(0)
	v_pk_mul_f32 v[2:3], v[14:15], v[4:5]
	s_nop 0
	v_pk_fma_f32 v[6:7], v[16:17], v[4:5], v[2:3] op_sel:[0,0,1] op_sel_hi:[1,1,0]
	v_pk_fma_f32 v[2:3], v[16:17], v[4:5], v[2:3] op_sel:[0,0,1] op_sel_hi:[1,1,0] neg_lo:[0,0,1] neg_hi:[0,0,1]
	s_nop 0
	v_mov_b32_e32 v7, v3
	v_pk_add_f32 v[4:5], v[8:9], v[6:7]
	v_pk_add_f32 v[2:3], v[0:1], v[8:9]
	v_pk_fma_f32 v[0:1], -0.5, v[4:5], v[0:1] op_sel_hi:[0,1,1]
	v_pk_add_f32 v[4:5], v[8:9], v[6:7] neg_lo:[0,1] neg_hi:[0,1]
	v_pk_add_f32 v[2:3], v[2:3], v[6:7]
	v_pk_mul_f32 v[4:5], v[4:5], s[0:1] op_sel_hi:[1,0]
	s_nop 0
	v_pk_add_f32 v[6:7], v[0:1], v[4:5] op_sel:[0,1] op_sel_hi:[1,0] neg_lo:[0,1] neg_hi:[0,1]
	v_pk_add_f32 v[0:1], v[0:1], v[4:5] op_sel:[0,1] op_sel_hi:[1,0]
	v_mov_b32_e32 v4, v6
	v_mov_b32_e32 v5, v1
	;; [unrolled: 1-line block ×3, first 2 shown]
	ds_write2_b64 v40, v[2:3], v[4:5] offset1:42
	ds_write_b64 v40, v[0:1] offset:672
	s_waitcnt lgkmcnt(0)
	s_barrier
	s_and_b64 exec, exec, vcc
	s_cbranch_execz .LBB0_23
; %bb.22:
	global_load_dwordx2 v[8:9], v36, s[2:3]
	global_load_dwordx2 v[10:11], v36, s[2:3] offset:168
	global_load_dwordx2 v[12:13], v36, s[2:3] offset:336
	;; [unrolled: 1-line block ×5, first 2 shown]
	v_mad_u64_u32 v[20:21], s[0:1], s6, v30, 0
	v_mov_b32_e32 v18, s8
	v_mov_b32_e32 v19, s9
	v_mad_u64_u32 v[22:23], s[8:9], s4, v31, 0
	v_lshl_add_u32 v27, v37, 3, v36
	v_mov_b32_e32 v26, v21
	v_mov_b32_e32 v28, v23
	ds_read2_b64 v[0:3], v27 offset0:21 offset1:42
	ds_read2_b64 v[4:7], v27 offset0:63 offset1:84
	ds_read_b64 v[32:33], v40
	ds_read_b64 v[34:35], v27 offset:840
	v_mad_u64_u32 v[26:27], s[2:3], s7, v30, v[26:27]
	v_mad_u64_u32 v[28:29], s[2:3], s5, v31, v[28:29]
	v_mov_b32_e32 v21, v26
	v_mov_b32_e32 v23, v28
	v_lshl_add_u64 v[18:19], v[20:21], 3, v[18:19]
	v_mov_b32_e32 v37, 0xa8
	v_lshl_add_u64 v[18:19], v[22:23], 3, v[18:19]
	s_mul_i32 s6, s5, 0xa8
	v_mad_u64_u32 v[20:21], s[2:3], s4, v37, v[18:19]
	s_mov_b32 s0, 0x10410410
	v_add_u32_e32 v21, s6, v21
	s_mov_b32 s1, 0x3f804104
	v_mad_u64_u32 v[22:23], s[2:3], s4, v37, v[20:21]
	v_add_u32_e32 v23, s6, v23
	v_mad_u64_u32 v[26:27], s[2:3], s4, v37, v[22:23]
	v_add_u32_e32 v27, s6, v27
	s_waitcnt vmcnt(5) lgkmcnt(1)
	v_mul_f32_e32 v28, v33, v9
	v_mul_f32_e32 v9, v32, v9
	s_waitcnt vmcnt(4)
	v_mul_f32_e32 v29, v1, v11
	v_mul_f32_e32 v11, v0, v11
	s_waitcnt vmcnt(3)
	;; [unrolled: 3-line block ×3, first 2 shown]
	v_mul_f32_e32 v31, v5, v15
	v_mul_f32_e32 v15, v4, v15
	v_fmac_f32_e32 v28, v32, v8
	v_fma_f32 v8, v8, v33, -v9
	v_fmac_f32_e32 v29, v0, v10
	v_fma_f32 v9, v10, v1, -v11
	;; [unrolled: 2-line block ×4, first 2 shown]
	v_cvt_f64_f32_e32 v[0:1], v28
	v_cvt_f64_f32_e32 v[2:3], v8
	s_waitcnt vmcnt(1)
	v_mul_f32_e32 v36, v7, v17
	v_cvt_f64_f32_e32 v[4:5], v29
	v_cvt_f64_f32_e32 v[8:9], v9
	v_cvt_f64_f32_e32 v[10:11], v30
	v_cvt_f64_f32_e32 v[12:13], v12
	v_cvt_f64_f32_e32 v[14:15], v31
	v_cvt_f64_f32_e32 v[28:29], v32
	v_mul_f64 v[0:1], v[0:1], s[0:1]
	v_mul_f64 v[2:3], v[2:3], s[0:1]
	v_fmac_f32_e32 v36, v6, v16
	v_mul_f64 v[4:5], v[4:5], s[0:1]
	v_mul_f64 v[8:9], v[8:9], s[0:1]
	;; [unrolled: 1-line block ×6, first 2 shown]
	v_cvt_f32_f64_e32 v0, v[0:1]
	v_cvt_f32_f64_e32 v1, v[2:3]
	;; [unrolled: 1-line block ×8, first 2 shown]
	global_store_dwordx2 v[18:19], v[0:1], off
	global_store_dwordx2 v[20:21], v[2:3], off
	;; [unrolled: 1-line block ×4, first 2 shown]
	v_cvt_f64_f32_e32 v[0:1], v36
	v_mul_f64 v[0:1], v[0:1], s[0:1]
	v_cvt_f32_f64_e32 v0, v[0:1]
	v_mul_f32_e32 v1, v6, v17
	v_fma_f32 v1, v16, v7, -v1
	v_cvt_f64_f32_e32 v[2:3], v1
	v_mul_f64 v[2:3], v[2:3], s[0:1]
	v_cvt_f32_f64_e32 v1, v[2:3]
	v_mad_u64_u32 v[2:3], s[2:3], s4, v37, v[26:27]
	v_add_u32_e32 v3, s6, v3
	global_store_dwordx2 v[2:3], v[0:1], off
	s_waitcnt vmcnt(5) lgkmcnt(0)
	v_mul_f32_e32 v0, v35, v25
	v_fmac_f32_e32 v0, v34, v24
	v_cvt_f64_f32_e32 v[0:1], v0
	v_mul_f64 v[0:1], v[0:1], s[0:1]
	v_cvt_f32_f64_e32 v0, v[0:1]
	v_mul_f32_e32 v1, v34, v25
	v_fma_f32 v1, v24, v35, -v1
	v_cvt_f64_f32_e32 v[4:5], v1
	v_mul_f64 v[4:5], v[4:5], s[0:1]
	v_mad_u64_u32 v[2:3], s[0:1], s4, v37, v[2:3]
	v_cvt_f32_f64_e32 v1, v[4:5]
	v_add_u32_e32 v3, s6, v3
	global_store_dwordx2 v[2:3], v[0:1], off
.LBB0_23:
	s_endpgm
	.section	.rodata,"a",@progbits
	.p2align	6, 0x0
	.amdhsa_kernel bluestein_single_fwd_len126_dim1_sp_op_CI_CI
		.amdhsa_group_segment_fixed_size 6048
		.amdhsa_private_segment_fixed_size 0
		.amdhsa_kernarg_size 104
		.amdhsa_user_sgpr_count 2
		.amdhsa_user_sgpr_dispatch_ptr 0
		.amdhsa_user_sgpr_queue_ptr 0
		.amdhsa_user_sgpr_kernarg_segment_ptr 1
		.amdhsa_user_sgpr_dispatch_id 0
		.amdhsa_user_sgpr_kernarg_preload_length 0
		.amdhsa_user_sgpr_kernarg_preload_offset 0
		.amdhsa_user_sgpr_private_segment_size 0
		.amdhsa_uses_dynamic_stack 0
		.amdhsa_enable_private_segment 0
		.amdhsa_system_sgpr_workgroup_id_x 1
		.amdhsa_system_sgpr_workgroup_id_y 0
		.amdhsa_system_sgpr_workgroup_id_z 0
		.amdhsa_system_sgpr_workgroup_info 0
		.amdhsa_system_vgpr_workitem_id 0
		.amdhsa_next_free_vgpr 69
		.amdhsa_next_free_sgpr 26
		.amdhsa_accum_offset 72
		.amdhsa_reserve_vcc 1
		.amdhsa_float_round_mode_32 0
		.amdhsa_float_round_mode_16_64 0
		.amdhsa_float_denorm_mode_32 3
		.amdhsa_float_denorm_mode_16_64 3
		.amdhsa_dx10_clamp 1
		.amdhsa_ieee_mode 1
		.amdhsa_fp16_overflow 0
		.amdhsa_tg_split 0
		.amdhsa_exception_fp_ieee_invalid_op 0
		.amdhsa_exception_fp_denorm_src 0
		.amdhsa_exception_fp_ieee_div_zero 0
		.amdhsa_exception_fp_ieee_overflow 0
		.amdhsa_exception_fp_ieee_underflow 0
		.amdhsa_exception_fp_ieee_inexact 0
		.amdhsa_exception_int_div_zero 0
	.end_amdhsa_kernel
	.text
.Lfunc_end0:
	.size	bluestein_single_fwd_len126_dim1_sp_op_CI_CI, .Lfunc_end0-bluestein_single_fwd_len126_dim1_sp_op_CI_CI
                                        ; -- End function
	.section	.AMDGPU.csdata,"",@progbits
; Kernel info:
; codeLenInByte = 4544
; NumSgprs: 32
; NumVgprs: 69
; NumAgprs: 0
; TotalNumVgprs: 69
; ScratchSize: 0
; MemoryBound: 0
; FloatMode: 240
; IeeeMode: 1
; LDSByteSize: 6048 bytes/workgroup (compile time only)
; SGPRBlocks: 3
; VGPRBlocks: 8
; NumSGPRsForWavesPerEU: 32
; NumVGPRsForWavesPerEU: 69
; AccumOffset: 72
; Occupancy: 7
; WaveLimiterHint : 1
; COMPUTE_PGM_RSRC2:SCRATCH_EN: 0
; COMPUTE_PGM_RSRC2:USER_SGPR: 2
; COMPUTE_PGM_RSRC2:TRAP_HANDLER: 0
; COMPUTE_PGM_RSRC2:TGID_X_EN: 1
; COMPUTE_PGM_RSRC2:TGID_Y_EN: 0
; COMPUTE_PGM_RSRC2:TGID_Z_EN: 0
; COMPUTE_PGM_RSRC2:TIDIG_COMP_CNT: 0
; COMPUTE_PGM_RSRC3_GFX90A:ACCUM_OFFSET: 17
; COMPUTE_PGM_RSRC3_GFX90A:TG_SPLIT: 0
	.text
	.p2alignl 6, 3212836864
	.fill 256, 4, 3212836864
	.type	__hip_cuid_aec142b23c17e8c4,@object ; @__hip_cuid_aec142b23c17e8c4
	.section	.bss,"aw",@nobits
	.globl	__hip_cuid_aec142b23c17e8c4
__hip_cuid_aec142b23c17e8c4:
	.byte	0                               ; 0x0
	.size	__hip_cuid_aec142b23c17e8c4, 1

	.ident	"AMD clang version 19.0.0git (https://github.com/RadeonOpenCompute/llvm-project roc-6.4.0 25133 c7fe45cf4b819c5991fe208aaa96edf142730f1d)"
	.section	".note.GNU-stack","",@progbits
	.addrsig
	.addrsig_sym __hip_cuid_aec142b23c17e8c4
	.amdgpu_metadata
---
amdhsa.kernels:
  - .agpr_count:     0
    .args:
      - .actual_access:  read_only
        .address_space:  global
        .offset:         0
        .size:           8
        .value_kind:     global_buffer
      - .actual_access:  read_only
        .address_space:  global
        .offset:         8
        .size:           8
        .value_kind:     global_buffer
      - .actual_access:  read_only
        .address_space:  global
        .offset:         16
        .size:           8
        .value_kind:     global_buffer
      - .actual_access:  read_only
        .address_space:  global
        .offset:         24
        .size:           8
        .value_kind:     global_buffer
      - .actual_access:  read_only
        .address_space:  global
        .offset:         32
        .size:           8
        .value_kind:     global_buffer
      - .offset:         40
        .size:           8
        .value_kind:     by_value
      - .address_space:  global
        .offset:         48
        .size:           8
        .value_kind:     global_buffer
      - .address_space:  global
        .offset:         56
        .size:           8
        .value_kind:     global_buffer
      - .address_space:  global
        .offset:         64
        .size:           8
        .value_kind:     global_buffer
      - .address_space:  global
        .offset:         72
        .size:           8
        .value_kind:     global_buffer
      - .offset:         80
        .size:           4
        .value_kind:     by_value
      - .address_space:  global
        .offset:         88
        .size:           8
        .value_kind:     global_buffer
      - .address_space:  global
        .offset:         96
        .size:           8
        .value_kind:     global_buffer
    .group_segment_fixed_size: 6048
    .kernarg_segment_align: 8
    .kernarg_segment_size: 104
    .language:       OpenCL C
    .language_version:
      - 2
      - 0
    .max_flat_workgroup_size: 252
    .name:           bluestein_single_fwd_len126_dim1_sp_op_CI_CI
    .private_segment_fixed_size: 0
    .sgpr_count:     32
    .sgpr_spill_count: 0
    .symbol:         bluestein_single_fwd_len126_dim1_sp_op_CI_CI.kd
    .uniform_work_group_size: 1
    .uses_dynamic_stack: false
    .vgpr_count:     69
    .vgpr_spill_count: 0
    .wavefront_size: 64
amdhsa.target:   amdgcn-amd-amdhsa--gfx950
amdhsa.version:
  - 1
  - 2
...

	.end_amdgpu_metadata
